;; amdgpu-corpus repo=ROCm/rocFFT kind=compiled arch=gfx906 opt=O3
	.text
	.amdgcn_target "amdgcn-amd-amdhsa--gfx906"
	.amdhsa_code_object_version 6
	.protected	fft_rtc_fwd_len350_factors_5_7_10_wgs_50_tpt_50_dp_ip_CI_sbrr_dirReg ; -- Begin function fft_rtc_fwd_len350_factors_5_7_10_wgs_50_tpt_50_dp_ip_CI_sbrr_dirReg
	.globl	fft_rtc_fwd_len350_factors_5_7_10_wgs_50_tpt_50_dp_ip_CI_sbrr_dirReg
	.p2align	8
	.type	fft_rtc_fwd_len350_factors_5_7_10_wgs_50_tpt_50_dp_ip_CI_sbrr_dirReg,@function
fft_rtc_fwd_len350_factors_5_7_10_wgs_50_tpt_50_dp_ip_CI_sbrr_dirReg: ; @fft_rtc_fwd_len350_factors_5_7_10_wgs_50_tpt_50_dp_ip_CI_sbrr_dirReg
; %bb.0:
	s_load_dwordx2 s[14:15], s[4:5], 0x18
	s_load_dwordx4 s[8:11], s[4:5], 0x0
	s_load_dwordx2 s[12:13], s[4:5], 0x50
	v_mul_u32_u24_e32 v1, 0x51f, v0
	v_add_u32_sdwa v5, s6, v1 dst_sel:DWORD dst_unused:UNUSED_PAD src0_sel:DWORD src1_sel:WORD_1
	s_waitcnt lgkmcnt(0)
	s_load_dwordx2 s[2:3], s[14:15], 0x0
	v_cmp_lt_u64_e64 s[0:1], s[10:11], 2
	v_mov_b32_e32 v3, 0
	v_mov_b32_e32 v1, 0
	;; [unrolled: 1-line block ×3, first 2 shown]
	s_and_b64 vcc, exec, s[0:1]
	v_mov_b32_e32 v2, 0
	s_cbranch_vccnz .LBB0_8
; %bb.1:
	s_load_dwordx2 s[0:1], s[4:5], 0x10
	s_add_u32 s6, s14, 8
	s_addc_u32 s7, s15, 0
	v_mov_b32_e32 v1, 0
	v_mov_b32_e32 v2, 0
	s_waitcnt lgkmcnt(0)
	s_add_u32 s16, s0, 8
	s_addc_u32 s17, s1, 0
	s_mov_b64 s[18:19], 1
.LBB0_2:                                ; =>This Inner Loop Header: Depth=1
	s_load_dwordx2 s[20:21], s[16:17], 0x0
                                        ; implicit-def: $vgpr7_vgpr8
	s_waitcnt lgkmcnt(0)
	v_or_b32_e32 v4, s21, v6
	v_cmp_ne_u64_e32 vcc, 0, v[3:4]
	s_and_saveexec_b64 s[0:1], vcc
	s_xor_b64 s[22:23], exec, s[0:1]
	s_cbranch_execz .LBB0_4
; %bb.3:                                ;   in Loop: Header=BB0_2 Depth=1
	v_cvt_f32_u32_e32 v4, s20
	v_cvt_f32_u32_e32 v7, s21
	s_sub_u32 s0, 0, s20
	s_subb_u32 s1, 0, s21
	v_mac_f32_e32 v4, 0x4f800000, v7
	v_rcp_f32_e32 v4, v4
	v_mul_f32_e32 v4, 0x5f7ffffc, v4
	v_mul_f32_e32 v7, 0x2f800000, v4
	v_trunc_f32_e32 v7, v7
	v_mac_f32_e32 v4, 0xcf800000, v7
	v_cvt_u32_f32_e32 v7, v7
	v_cvt_u32_f32_e32 v4, v4
	v_mul_lo_u32 v8, s0, v7
	v_mul_hi_u32 v9, s0, v4
	v_mul_lo_u32 v11, s1, v4
	v_mul_lo_u32 v10, s0, v4
	v_add_u32_e32 v8, v9, v8
	v_add_u32_e32 v8, v8, v11
	v_mul_hi_u32 v9, v4, v10
	v_mul_lo_u32 v11, v4, v8
	v_mul_hi_u32 v13, v4, v8
	v_mul_hi_u32 v12, v7, v10
	v_mul_lo_u32 v10, v7, v10
	v_mul_hi_u32 v14, v7, v8
	v_add_co_u32_e32 v9, vcc, v9, v11
	v_addc_co_u32_e32 v11, vcc, 0, v13, vcc
	v_mul_lo_u32 v8, v7, v8
	v_add_co_u32_e32 v9, vcc, v9, v10
	v_addc_co_u32_e32 v9, vcc, v11, v12, vcc
	v_addc_co_u32_e32 v10, vcc, 0, v14, vcc
	v_add_co_u32_e32 v8, vcc, v9, v8
	v_addc_co_u32_e32 v9, vcc, 0, v10, vcc
	v_add_co_u32_e32 v4, vcc, v4, v8
	v_addc_co_u32_e32 v7, vcc, v7, v9, vcc
	v_mul_lo_u32 v8, s0, v7
	v_mul_hi_u32 v9, s0, v4
	v_mul_lo_u32 v10, s1, v4
	v_mul_lo_u32 v11, s0, v4
	v_add_u32_e32 v8, v9, v8
	v_add_u32_e32 v8, v8, v10
	v_mul_lo_u32 v12, v4, v8
	v_mul_hi_u32 v13, v4, v11
	v_mul_hi_u32 v14, v4, v8
	;; [unrolled: 1-line block ×3, first 2 shown]
	v_mul_lo_u32 v11, v7, v11
	v_mul_hi_u32 v9, v7, v8
	v_add_co_u32_e32 v12, vcc, v13, v12
	v_addc_co_u32_e32 v13, vcc, 0, v14, vcc
	v_mul_lo_u32 v8, v7, v8
	v_add_co_u32_e32 v11, vcc, v12, v11
	v_addc_co_u32_e32 v10, vcc, v13, v10, vcc
	v_addc_co_u32_e32 v9, vcc, 0, v9, vcc
	v_add_co_u32_e32 v8, vcc, v10, v8
	v_addc_co_u32_e32 v9, vcc, 0, v9, vcc
	v_add_co_u32_e32 v4, vcc, v4, v8
	v_addc_co_u32_e32 v9, vcc, v7, v9, vcc
	v_mad_u64_u32 v[7:8], s[0:1], v5, v9, 0
	v_mul_hi_u32 v10, v5, v4
	v_add_co_u32_e32 v11, vcc, v10, v7
	v_addc_co_u32_e32 v12, vcc, 0, v8, vcc
	v_mad_u64_u32 v[7:8], s[0:1], v6, v4, 0
	v_mad_u64_u32 v[9:10], s[0:1], v6, v9, 0
	v_add_co_u32_e32 v4, vcc, v11, v7
	v_addc_co_u32_e32 v4, vcc, v12, v8, vcc
	v_addc_co_u32_e32 v7, vcc, 0, v10, vcc
	v_add_co_u32_e32 v4, vcc, v4, v9
	v_addc_co_u32_e32 v9, vcc, 0, v7, vcc
	v_mul_lo_u32 v10, s21, v4
	v_mul_lo_u32 v11, s20, v9
	v_mad_u64_u32 v[7:8], s[0:1], s20, v4, 0
	v_add3_u32 v8, v8, v11, v10
	v_sub_u32_e32 v10, v6, v8
	v_mov_b32_e32 v11, s21
	v_sub_co_u32_e32 v7, vcc, v5, v7
	v_subb_co_u32_e64 v10, s[0:1], v10, v11, vcc
	v_subrev_co_u32_e64 v11, s[0:1], s20, v7
	v_subbrev_co_u32_e64 v10, s[0:1], 0, v10, s[0:1]
	v_cmp_le_u32_e64 s[0:1], s21, v10
	v_cndmask_b32_e64 v12, 0, -1, s[0:1]
	v_cmp_le_u32_e64 s[0:1], s20, v11
	v_cndmask_b32_e64 v11, 0, -1, s[0:1]
	v_cmp_eq_u32_e64 s[0:1], s21, v10
	v_cndmask_b32_e64 v10, v12, v11, s[0:1]
	v_add_co_u32_e64 v11, s[0:1], 2, v4
	v_addc_co_u32_e64 v12, s[0:1], 0, v9, s[0:1]
	v_add_co_u32_e64 v13, s[0:1], 1, v4
	v_addc_co_u32_e64 v14, s[0:1], 0, v9, s[0:1]
	v_subb_co_u32_e32 v8, vcc, v6, v8, vcc
	v_cmp_ne_u32_e64 s[0:1], 0, v10
	v_cmp_le_u32_e32 vcc, s21, v8
	v_cndmask_b32_e64 v10, v14, v12, s[0:1]
	v_cndmask_b32_e64 v12, 0, -1, vcc
	v_cmp_le_u32_e32 vcc, s20, v7
	v_cndmask_b32_e64 v7, 0, -1, vcc
	v_cmp_eq_u32_e32 vcc, s21, v8
	v_cndmask_b32_e32 v7, v12, v7, vcc
	v_cmp_ne_u32_e32 vcc, 0, v7
	v_cndmask_b32_e64 v7, v13, v11, s[0:1]
	v_cndmask_b32_e32 v8, v9, v10, vcc
	v_cndmask_b32_e32 v7, v4, v7, vcc
.LBB0_4:                                ;   in Loop: Header=BB0_2 Depth=1
	s_andn2_saveexec_b64 s[0:1], s[22:23]
	s_cbranch_execz .LBB0_6
; %bb.5:                                ;   in Loop: Header=BB0_2 Depth=1
	v_cvt_f32_u32_e32 v4, s20
	s_sub_i32 s22, 0, s20
	v_rcp_iflag_f32_e32 v4, v4
	v_mul_f32_e32 v4, 0x4f7ffffe, v4
	v_cvt_u32_f32_e32 v4, v4
	v_mul_lo_u32 v7, s22, v4
	v_mul_hi_u32 v7, v4, v7
	v_add_u32_e32 v4, v4, v7
	v_mul_hi_u32 v4, v5, v4
	v_mul_lo_u32 v7, v4, s20
	v_add_u32_e32 v8, 1, v4
	v_sub_u32_e32 v7, v5, v7
	v_subrev_u32_e32 v9, s20, v7
	v_cmp_le_u32_e32 vcc, s20, v7
	v_cndmask_b32_e32 v7, v7, v9, vcc
	v_cndmask_b32_e32 v4, v4, v8, vcc
	v_add_u32_e32 v8, 1, v4
	v_cmp_le_u32_e32 vcc, s20, v7
	v_cndmask_b32_e32 v7, v4, v8, vcc
	v_mov_b32_e32 v8, v3
.LBB0_6:                                ;   in Loop: Header=BB0_2 Depth=1
	s_or_b64 exec, exec, s[0:1]
	v_mul_lo_u32 v4, v8, s20
	v_mul_lo_u32 v11, v7, s21
	v_mad_u64_u32 v[9:10], s[0:1], v7, s20, 0
	s_load_dwordx2 s[0:1], s[6:7], 0x0
	s_add_u32 s18, s18, 1
	v_add3_u32 v4, v10, v11, v4
	v_sub_co_u32_e32 v5, vcc, v5, v9
	v_subb_co_u32_e32 v4, vcc, v6, v4, vcc
	s_waitcnt lgkmcnt(0)
	v_mul_lo_u32 v4, s0, v4
	v_mul_lo_u32 v6, s1, v5
	v_mad_u64_u32 v[1:2], s[0:1], s0, v5, v[1:2]
	s_addc_u32 s19, s19, 0
	s_add_u32 s6, s6, 8
	v_add3_u32 v2, v6, v2, v4
	v_mov_b32_e32 v4, s10
	v_mov_b32_e32 v5, s11
	s_addc_u32 s7, s7, 0
	v_cmp_ge_u64_e32 vcc, s[18:19], v[4:5]
	s_add_u32 s16, s16, 8
	s_addc_u32 s17, s17, 0
	s_cbranch_vccnz .LBB0_9
; %bb.7:                                ;   in Loop: Header=BB0_2 Depth=1
	v_mov_b32_e32 v5, v7
	v_mov_b32_e32 v6, v8
	s_branch .LBB0_2
.LBB0_8:
	v_mov_b32_e32 v8, v6
	v_mov_b32_e32 v7, v5
.LBB0_9:
	s_lshl_b64 s[0:1], s[10:11], 3
	s_add_u32 s0, s14, s0
	s_addc_u32 s1, s15, s1
	s_load_dwordx2 s[6:7], s[0:1], 0x0
	s_load_dwordx2 s[10:11], s[4:5], 0x20
                                        ; implicit-def: $vgpr53
	s_waitcnt lgkmcnt(0)
	v_mad_u64_u32 v[1:2], s[0:1], s6, v7, v[1:2]
	s_mov_b32 s0, 0x51eb852
	v_mul_lo_u32 v3, s6, v8
	v_mul_lo_u32 v4, s7, v7
	v_mul_hi_u32 v5, v0, s0
	v_cmp_gt_u64_e32 vcc, s[10:11], v[7:8]
	v_cmp_le_u64_e64 s[0:1], s[10:11], v[7:8]
	v_add3_u32 v2, v4, v2, v3
	v_mul_u32_u24_e32 v3, 50, v5
	v_sub_u32_e32 v50, v0, v3
	v_add_u32_e32 v52, 50, v50
	s_and_saveexec_b64 s[4:5], s[0:1]
	s_xor_b64 s[0:1], exec, s[4:5]
; %bb.10:
	v_add_u32_e32 v53, 50, v50
; %bb.11:
	s_or_saveexec_b64 s[4:5], s[0:1]
	v_lshlrev_b64 v[40:41], 4, v[1:2]
	v_lshl_add_u32 v51, v50, 4, 0
	s_xor_b64 exec, exec, s[4:5]
	s_cbranch_execz .LBB0_13
; %bb.12:
	v_mad_u64_u32 v[0:1], s[0:1], s2, v50, 0
	v_add_u32_e32 v8, 0x64, v50
	v_add_u32_e32 v16, 0x96, v50
	v_mad_u64_u32 v[1:2], s[0:1], s3, v50, v[1:2]
	v_mov_b32_e32 v2, s13
	v_add_co_u32_e64 v30, s[0:1], s12, v40
	v_addc_co_u32_e64 v31, s[0:1], v2, v41, s[0:1]
	v_mad_u64_u32 v[2:3], s[0:1], s2, v52, 0
	v_mad_u64_u32 v[4:5], s[0:1], s2, v8, 0
	v_lshlrev_b64 v[0:1], 4, v[0:1]
	v_mov_b32_e32 v53, v52
	v_mad_u64_u32 v[6:7], s[0:1], s3, v52, v[3:4]
	v_mov_b32_e32 v3, v5
	v_mad_u64_u32 v[7:8], s[0:1], s3, v8, v[3:4]
	v_add_co_u32_e64 v8, s[0:1], v30, v0
	v_addc_co_u32_e64 v9, s[0:1], v31, v1, s[0:1]
	v_mov_b32_e32 v3, v6
	v_mad_u64_u32 v[12:13], s[0:1], s2, v16, 0
	v_lshlrev_b64 v[0:1], 4, v[2:3]
	v_mov_b32_e32 v5, v7
	v_add_co_u32_e64 v14, s[0:1], v30, v0
	v_lshlrev_b64 v[10:11], 4, v[4:5]
	v_addc_co_u32_e64 v15, s[0:1], v31, v1, s[0:1]
	global_load_dwordx4 v[0:3], v[8:9], off
	global_load_dwordx4 v[4:7], v[14:15], off
	v_mov_b32_e32 v8, v13
	v_mad_u64_u32 v[8:9], s[0:1], s3, v16, v[8:9]
	v_add_co_u32_e64 v16, s[0:1], v30, v10
	v_mov_b32_e32 v13, v8
	v_lshlrev_b64 v[8:9], 4, v[12:13]
	v_addc_co_u32_e64 v17, s[0:1], v31, v11, s[0:1]
	v_add_co_u32_e64 v18, s[0:1], v30, v8
	v_addc_co_u32_e64 v19, s[0:1], v31, v9, s[0:1]
	v_add_u32_e32 v9, 0xc8, v50
	v_mad_u64_u32 v[20:21], s[0:1], s2, v9, 0
	v_add_u32_e32 v10, 0xfa, v50
	v_mad_u64_u32 v[22:23], s[0:1], s2, v10, 0
	v_mov_b32_e32 v8, v21
	v_mad_u64_u32 v[24:25], s[0:1], s3, v9, v[8:9]
	v_add_u32_e32 v9, 0x12c, v50
	v_mad_u64_u32 v[25:26], s[0:1], s2, v9, 0
	v_mov_b32_e32 v8, v23
	v_mad_u64_u32 v[27:28], s[0:1], s3, v10, v[8:9]
	v_mov_b32_e32 v8, v26
	;; [unrolled: 2-line block ×3, first 2 shown]
	global_load_dwordx4 v[8:11], v[16:17], off
	global_load_dwordx4 v[12:15], v[18:19], off
	v_lshlrev_b64 v[16:17], 4, v[20:21]
	v_mov_b32_e32 v23, v27
	v_mov_b32_e32 v26, v28
	v_lshlrev_b64 v[18:19], 4, v[22:23]
	v_lshlrev_b64 v[24:25], 4, v[25:26]
	v_add_co_u32_e64 v26, s[0:1], v30, v16
	v_addc_co_u32_e64 v27, s[0:1], v31, v17, s[0:1]
	v_add_co_u32_e64 v28, s[0:1], v30, v18
	v_addc_co_u32_e64 v29, s[0:1], v31, v19, s[0:1]
	global_load_dwordx4 v[16:19], v[26:27], off
	global_load_dwordx4 v[20:23], v[28:29], off
	v_add_co_u32_e64 v24, s[0:1], v30, v24
	v_addc_co_u32_e64 v25, s[0:1], v31, v25, s[0:1]
	global_load_dwordx4 v[24:27], v[24:25], off
	s_waitcnt vmcnt(6)
	ds_write_b128 v51, v[0:3]
	s_waitcnt vmcnt(5)
	ds_write_b128 v51, v[4:7] offset:800
	s_waitcnt vmcnt(4)
	ds_write_b128 v51, v[8:11] offset:1600
	;; [unrolled: 2-line block ×6, first 2 shown]
.LBB0_13:
	s_or_b64 exec, exec, s[4:5]
	s_waitcnt lgkmcnt(0)
	; wave barrier
	s_waitcnt lgkmcnt(0)
	ds_read_b128 v[0:3], v51 offset:1120
	ds_read_b128 v[4:7], v51
	ds_read_b128 v[12:15], v51 offset:800
	ds_read_b128 v[16:19], v51 offset:1920
	ds_read_b128 v[8:11], v51 offset:2240
	ds_read_b128 v[24:27], v51 offset:3040
	ds_read_b128 v[32:35], v51 offset:3360
	ds_read_b128 v[20:23], v51 offset:4160
	s_mov_b32 s4, 0x134454ff
	s_waitcnt lgkmcnt(6)
	v_add_f64 v[28:29], v[4:5], v[0:1]
	v_add_f64 v[30:31], v[6:7], v[2:3]
	s_waitcnt lgkmcnt(1)
	v_add_f64 v[46:47], v[8:9], v[32:33]
	v_add_f64 v[48:49], v[10:11], -v[34:35]
	v_add_f64 v[62:63], v[10:11], v[34:35]
	v_add_f64 v[64:65], v[2:3], -v[10:11]
	v_add_f64 v[58:59], v[0:1], -v[8:9]
	;; [unrolled: 1-line block ×3, first 2 shown]
	v_add_f64 v[42:43], v[28:29], v[8:9]
	v_add_f64 v[44:45], v[30:31], v[10:11]
	ds_read_b128 v[36:39], v51 offset:4480
	ds_read_b128 v[28:31], v51 offset:5280
	v_add_f64 v[10:11], v[10:11], -v[2:3]
	v_add_f64 v[8:9], v[8:9], -v[32:33]
	s_mov_b32 s5, 0x3fee6f0e
	s_waitcnt lgkmcnt(1)
	v_add_f64 v[66:67], v[2:3], -v[38:39]
	v_add_f64 v[68:69], v[0:1], v[36:37]
	v_add_f64 v[42:43], v[42:43], v[32:33]
	v_add_f64 v[44:45], v[44:45], v[34:35]
	v_add_f64 v[2:3], v[2:3], v[38:39]
	v_add_f64 v[0:1], v[0:1], -v[36:37]
	s_mov_b32 s1, 0xbfee6f0e
	s_mov_b32 s0, s4
	;; [unrolled: 1-line block ×4, first 2 shown]
	v_add_f64 v[54:55], v[42:43], v[36:37]
	v_add_f64 v[56:57], v[44:45], v[38:39]
	v_add_f64 v[42:43], v[32:33], -v[36:37]
	v_add_f64 v[44:45], v[34:35], -v[38:39]
	;; [unrolled: 1-line block ×3, first 2 shown]
	v_fma_f64 v[36:37], v[46:47], -0.5, v[4:5]
	v_fma_f64 v[4:5], v[68:69], -0.5, v[4:5]
	;; [unrolled: 1-line block ×3, first 2 shown]
	v_add_f64 v[34:35], v[38:39], -v[34:35]
	v_fma_f64 v[38:39], v[62:63], -0.5, v[6:7]
	v_add_f64 v[6:7], v[60:61], v[42:43]
	v_add_f64 v[10:11], v[10:11], v[44:45]
	s_mov_b32 s15, 0xbfe2cf23
	v_fma_f64 v[46:47], v[66:67], s[4:5], v[36:37]
	v_fma_f64 v[42:43], v[48:49], s[0:1], v[4:5]
	;; [unrolled: 1-line block ×6, first 2 shown]
	s_mov_b32 s14, s6
	v_fma_f64 v[60:61], v[0:1], s[0:1], v[38:39]
	v_add_f64 v[32:33], v[58:59], v[32:33]
	v_fma_f64 v[42:43], v[66:67], s[6:7], v[42:43]
	v_fma_f64 v[44:45], v[0:1], s[14:15], v[44:45]
	;; [unrolled: 1-line block ×6, first 2 shown]
	s_mov_b32 s10, 0x372fe950
	s_mov_b32 s11, 0x3fd3c6ef
	v_fma_f64 v[38:39], v[48:49], s[6:7], v[46:47]
	v_add_f64 v[34:35], v[64:65], v[34:35]
	v_fma_f64 v[46:47], v[8:9], s[14:15], v[60:61]
	v_fma_f64 v[58:59], v[6:7], s[10:11], v[42:43]
	;; [unrolled: 1-line block ×5, first 2 shown]
	s_waitcnt lgkmcnt(0)
	v_add_f64 v[2:3], v[16:17], v[28:29]
	v_fma_f64 v[70:71], v[32:33], s[10:11], v[36:37]
	v_add_f64 v[4:5], v[18:19], v[30:31]
	v_add_f64 v[36:37], v[24:25], v[20:21]
	;; [unrolled: 1-line block ×3, first 2 shown]
	v_fma_f64 v[60:61], v[10:11], s[10:11], v[44:45]
	v_fma_f64 v[66:67], v[32:33], s[10:11], v[38:39]
	;; [unrolled: 1-line block ×4, first 2 shown]
	v_add_f64 v[0:1], v[24:25], -v[16:17]
	v_add_f64 v[6:7], v[20:21], -v[28:29]
	v_add_f64 v[8:9], v[26:27], -v[18:19]
	v_add_f64 v[10:11], v[22:23], -v[30:31]
	v_fma_f64 v[2:3], v[2:3], -0.5, v[12:13]
	v_add_f64 v[32:33], v[26:27], -v[22:23]
	v_fma_f64 v[4:5], v[4:5], -0.5, v[14:15]
	v_add_f64 v[34:35], v[24:25], -v[20:21]
	v_add_f64 v[38:39], v[18:19], -v[30:31]
	v_add_f64 v[48:49], v[16:17], -v[28:29]
	v_fma_f64 v[36:37], v[36:37], -0.5, v[12:13]
	v_fma_f64 v[42:43], v[42:43], -0.5, v[14:15]
	v_add_f64 v[6:7], v[0:1], v[6:7]
	v_add_f64 v[8:9], v[8:9], v[10:11]
	v_fma_f64 v[0:1], v[32:33], s[0:1], v[2:3]
	v_fma_f64 v[10:11], v[34:35], s[4:5], v[4:5]
	;; [unrolled: 1-line block ×4, first 2 shown]
	v_add_f64 v[44:45], v[16:17], -v[24:25]
	v_add_f64 v[46:47], v[28:29], -v[20:21]
	;; [unrolled: 1-line block ×4, first 2 shown]
	v_fma_f64 v[78:79], v[38:39], s[0:1], v[36:37]
	v_fma_f64 v[80:81], v[48:49], s[4:5], v[42:43]
	;; [unrolled: 1-line block ×6, first 2 shown]
	v_add_f64 v[44:45], v[44:45], v[46:47]
	v_add_f64 v[46:47], v[74:75], v[76:77]
	v_fma_f64 v[74:75], v[32:33], s[14:15], v[78:79]
	v_fma_f64 v[76:77], v[34:35], s[6:7], v[80:81]
	;; [unrolled: 1-line block ×6, first 2 shown]
	v_cmp_gt_u32_e64 s[0:1], 20, v50
	v_fma_f64 v[8:9], v[44:45], s[10:11], v[74:75]
	v_fma_f64 v[10:11], v[46:47], s[10:11], v[76:77]
	v_lshl_add_u32 v74, v50, 6, v51
	; wave barrier
	ds_write_b128 v74, v[54:57]
	ds_write_b128 v74, v[66:69] offset:16
	ds_write_b128 v74, v[58:61] offset:32
	;; [unrolled: 1-line block ×4, first 2 shown]
	s_and_saveexec_b64 s[14:15], s[0:1]
	s_cbranch_execz .LBB0_15
; %bb.14:
	v_add_f64 v[14:15], v[14:15], v[18:19]
	v_add_f64 v[12:13], v[12:13], v[16:17]
	v_mul_f64 v[48:49], v[48:49], s[4:5]
	v_mul_f64 v[16:17], v[38:39], s[4:5]
	;; [unrolled: 1-line block ×4, first 2 shown]
	s_movk_i32 s0, 0x50
	v_add_f64 v[14:15], v[14:15], v[26:27]
	v_add_f64 v[12:13], v[12:13], v[24:25]
	v_add_f64 v[34:35], v[42:43], -v[48:49]
	v_add_f64 v[16:17], v[36:37], v[16:17]
	v_mul_f64 v[24:25], v[44:45], s[10:11]
	v_mul_f64 v[26:27], v[46:47], s[10:11]
	v_add_f64 v[22:23], v[14:15], v[22:23]
	v_add_f64 v[12:13], v[12:13], v[20:21]
	v_add_f64 v[32:33], v[34:35], -v[32:33]
	v_add_f64 v[20:21], v[18:19], v[16:17]
	v_add_f64 v[18:19], v[22:23], v[30:31]
	;; [unrolled: 1-line block ×5, first 2 shown]
	v_mad_i32_i24 v20, v53, s0, 0
	ds_write_b128 v20, v[0:3] offset:32
	ds_write_b128 v20, v[4:7] offset:48
	ds_write_b128 v20, v[16:19]
	ds_write_b128 v20, v[12:15] offset:16
	ds_write_b128 v20, v[8:11] offset:64
.LBB0_15:
	s_or_b64 exec, exec, s[14:15]
	s_movk_i32 s0, 0xcd
	v_mul_lo_u16_sdwa v12, v50, s0 dst_sel:DWORD dst_unused:UNUSED_PAD src0_sel:BYTE_0 src1_sel:DWORD
	v_lshrrev_b16_e32 v69, 10, v12
	v_mul_lo_u16_e32 v12, 5, v69
	v_sub_u16_e32 v70, v50, v12
	v_mov_b32_e32 v12, 6
	v_mul_u32_u24_sdwa v12, v70, v12 dst_sel:DWORD dst_unused:UNUSED_PAD src0_sel:BYTE_0 src1_sel:DWORD
	v_lshlrev_b32_e32 v36, 4, v12
	s_waitcnt lgkmcnt(0)
	; wave barrier
	s_waitcnt lgkmcnt(0)
	global_load_dwordx4 v[12:15], v36, s[8:9]
	global_load_dwordx4 v[16:19], v36, s[8:9] offset:16
	global_load_dwordx4 v[20:23], v36, s[8:9] offset:32
	;; [unrolled: 1-line block ×5, first 2 shown]
	v_lshl_add_u32 v65, v53, 4, 0
	ds_read_b128 v[36:39], v51
	ds_read_b128 v[42:45], v51 offset:1600
	ds_read_b128 v[46:49], v51 offset:2400
	;; [unrolled: 1-line block ×5, first 2 shown]
	ds_read_b128 v[65:68], v65
	v_mov_b32_e32 v71, 4
	v_mul_u32_u24_e32 v81, 0x230, v69
	v_lshlrev_b32_sdwa v82, v71, v70 dst_sel:DWORD dst_unused:UNUSED_PAD src0_sel:DWORD src1_sel:BYTE_0
	s_mov_b32 s0, 0x37e14327
	s_mov_b32 s4, 0x36b3c0b5
	;; [unrolled: 1-line block ×16, first 2 shown]
	s_waitcnt lgkmcnt(0)
	; wave barrier
	s_waitcnt vmcnt(5) lgkmcnt(0)
	v_mul_f64 v[69:70], v[67:68], v[14:15]
	v_mul_f64 v[14:15], v[65:66], v[14:15]
	s_waitcnt vmcnt(4)
	v_mul_f64 v[71:72], v[44:45], v[18:19]
	v_mul_f64 v[18:19], v[42:43], v[18:19]
	s_waitcnt vmcnt(3)
	;; [unrolled: 3-line block ×4, first 2 shown]
	v_mul_f64 v[79:80], v[59:60], v[34:35]
	v_mul_f64 v[34:35], v[57:58], v[34:35]
	;; [unrolled: 1-line block ×4, first 2 shown]
	v_fma_f64 v[65:66], v[65:66], v[12:13], -v[69:70]
	v_fma_f64 v[12:13], v[67:68], v[12:13], v[14:15]
	v_fma_f64 v[14:15], v[42:43], v[16:17], -v[71:72]
	v_fma_f64 v[16:17], v[44:45], v[16:17], v[18:19]
	;; [unrolled: 2-line block ×6, first 2 shown]
	v_add_f64 v[26:27], v[65:66], v[18:19]
	v_add_f64 v[42:43], v[12:13], v[28:29]
	v_add_f64 v[12:13], v[12:13], -v[28:29]
	v_add_f64 v[18:19], v[65:66], -v[18:19]
	v_add_f64 v[28:29], v[14:15], v[22:23]
	v_add_f64 v[44:45], v[16:17], v[32:33]
	v_add_f64 v[14:15], v[14:15], -v[22:23]
	v_add_f64 v[16:17], v[16:17], -v[32:33]
	;; [unrolled: 4-line block ×4, first 2 shown]
	v_add_f64 v[28:29], v[22:23], -v[28:29]
	v_add_f64 v[42:43], v[42:43], -v[32:33]
	;; [unrolled: 1-line block ×3, first 2 shown]
	v_add_f64 v[53:54], v[30:31], v[14:15]
	v_add_f64 v[55:56], v[20:21], v[16:17]
	v_add_f64 v[57:58], v[30:31], -v[14:15]
	v_add_f64 v[59:60], v[20:21], -v[16:17]
	;; [unrolled: 1-line block ×5, first 2 shown]
	v_add_f64 v[22:23], v[22:23], v[24:25]
	v_add_f64 v[24:25], v[32:33], v[34:35]
	v_add_f64 v[30:31], v[18:19], -v[30:31]
	v_add_f64 v[20:21], v[12:13], -v[20:21]
	v_add_f64 v[18:19], v[53:54], v[18:19]
	v_add_f64 v[32:33], v[55:56], v[12:13]
	v_mul_f64 v[34:35], v[42:43], s[0:1]
	v_mul_f64 v[42:43], v[28:29], s[4:5]
	;; [unrolled: 1-line block ×8, first 2 shown]
	v_add_f64 v[12:13], v[36:37], v[22:23]
	v_add_f64 v[14:15], v[38:39], v[24:25]
	v_fma_f64 v[36:37], v[44:45], s[4:5], v[34:35]
	v_fma_f64 v[38:39], v[46:47], s[16:17], -v[42:43]
	v_fma_f64 v[42:43], v[48:49], s[16:17], -v[53:54]
	s_mov_b32 s17, 0xbfe77f67
	v_fma_f64 v[44:45], v[30:31], s[18:19], v[55:56]
	v_fma_f64 v[53:54], v[20:21], s[18:19], v[57:58]
	s_mov_b32 s19, 0xbfd5d0dc
	v_fma_f64 v[28:29], v[28:29], s[4:5], v[26:27]
	v_fma_f64 v[55:56], v[61:62], s[6:7], -v[55:56]
	v_fma_f64 v[16:17], v[16:17], s[6:7], -v[57:58]
	;; [unrolled: 1-line block ×6, first 2 shown]
	v_fma_f64 v[22:23], v[22:23], s[10:11], v[12:13]
	v_fma_f64 v[24:25], v[24:25], s[10:11], v[14:15]
	v_fma_f64 v[44:45], v[18:19], s[20:21], v[44:45]
	v_fma_f64 v[46:47], v[32:33], s[20:21], v[53:54]
	v_fma_f64 v[48:49], v[18:19], s[20:21], v[55:56]
	v_fma_f64 v[53:54], v[32:33], s[20:21], v[16:17]
	v_fma_f64 v[30:31], v[18:19], s[20:21], v[30:31]
	v_fma_f64 v[55:56], v[32:33], s[20:21], v[20:21]
	v_add_f64 v[57:58], v[28:29], v[22:23]
	v_add_f64 v[59:60], v[36:37], v[24:25]
	;; [unrolled: 1-line block ×6, first 2 shown]
	v_add3_u32 v42, 0, v81, v82
	v_cmp_gt_u32_e64 s[0:1], 35, v50
	v_add_f64 v[16:17], v[46:47], v[57:58]
	v_add_f64 v[18:19], v[59:60], -v[44:45]
	v_add_f64 v[20:21], v[55:56], v[28:29]
	v_add_f64 v[22:23], v[36:37], -v[30:31]
	v_add_f64 v[24:25], v[32:33], -v[53:54]
	v_add_f64 v[26:27], v[48:49], v[34:35]
	v_add_f64 v[32:33], v[53:54], v[32:33]
	v_add_f64 v[34:35], v[34:35], -v[48:49]
	v_add_f64 v[28:29], v[28:29], -v[55:56]
	v_add_f64 v[30:31], v[30:31], v[36:37]
	v_add_f64 v[36:37], v[57:58], -v[46:47]
	v_add_f64 v[38:39], v[44:45], v[59:60]
	ds_write_b128 v42, v[12:15]
	ds_write_b128 v42, v[16:19] offset:80
	ds_write_b128 v42, v[20:23] offset:160
	;; [unrolled: 1-line block ×6, first 2 shown]
	s_waitcnt lgkmcnt(0)
	; wave barrier
	s_waitcnt lgkmcnt(0)
	s_and_saveexec_b64 s[4:5], s[0:1]
	s_cbranch_execz .LBB0_17
; %bb.16:
	ds_read_b128 v[12:15], v51
	ds_read_b128 v[16:19], v51 offset:560
	ds_read_b128 v[20:23], v51 offset:1120
	;; [unrolled: 1-line block ×9, first 2 shown]
.LBB0_17:
	s_or_b64 exec, exec, s[4:5]
	s_waitcnt lgkmcnt(0)
	; wave barrier
	s_waitcnt lgkmcnt(0)
	s_and_saveexec_b64 s[4:5], s[0:1]
	s_cbranch_execz .LBB0_19
; %bb.18:
	v_subrev_u32_e32 v42, 35, v50
	v_cndmask_b32_e64 v42, v42, v50, s[0:1]
	v_mul_i32_i24_e32 v42, 9, v42
	v_mov_b32_e32 v43, 0
	v_lshlrev_b64 v[42:43], 4, v[42:43]
	v_mov_b32_e32 v44, s9
	v_add_co_u32_e64 v81, s[0:1], s8, v42
	v_addc_co_u32_e64 v82, s[0:1], v44, v43, s[0:1]
	global_load_dwordx4 v[42:45], v[81:82], off offset:528
	global_load_dwordx4 v[46:49], v[81:82], off offset:560
	;; [unrolled: 1-line block ×9, first 2 shown]
	s_mov_b32 s0, 0x134454ff
	s_mov_b32 s1, 0x3fee6f0e
	;; [unrolled: 1-line block ×12, first 2 shown]
	s_waitcnt vmcnt(8)
	v_mul_f64 v[81:82], v[32:33], v[44:45]
	v_mul_f64 v[44:45], v[34:35], v[44:45]
	s_waitcnt vmcnt(7)
	v_mul_f64 v[83:84], v[36:37], v[48:49]
	s_waitcnt vmcnt(6)
	;; [unrolled: 2-line block ×3, first 2 shown]
	v_mul_f64 v[87:88], v[4:5], v[59:60]
	v_mul_f64 v[59:60], v[6:7], v[59:60]
	s_waitcnt vmcnt(4)
	v_mul_f64 v[89:90], v[26:27], v[63:64]
	v_mul_f64 v[63:64], v[24:25], v[63:64]
	s_waitcnt vmcnt(3)
	v_mul_f64 v[91:92], v[30:31], v[67:68]
	s_waitcnt vmcnt(2)
	v_mul_f64 v[93:94], v[10:11], v[71:72]
	v_mul_f64 v[71:72], v[8:9], v[71:72]
	s_waitcnt vmcnt(1)
	v_mul_f64 v[95:96], v[2:3], v[75:76]
	s_waitcnt vmcnt(0)
	v_mul_f64 v[97:98], v[18:19], v[79:80]
	v_mul_f64 v[67:68], v[28:29], v[67:68]
	v_mul_f64 v[75:76], v[0:1], v[75:76]
	v_mul_f64 v[79:80], v[16:17], v[79:80]
	v_mul_f64 v[48:49], v[38:39], v[48:49]
	v_mul_f64 v[55:56], v[22:23], v[55:56]
	v_fma_f64 v[34:35], v[34:35], v[42:43], v[81:82]
	v_fma_f64 v[32:33], v[32:33], v[42:43], -v[44:45]
	v_fma_f64 v[38:39], v[38:39], v[46:47], v[83:84]
	v_fma_f64 v[22:23], v[22:23], v[53:54], v[85:86]
	v_fma_f64 v[6:7], v[6:7], v[57:58], v[87:88]
	v_fma_f64 v[42:43], v[4:5], v[57:58], -v[59:60]
	v_fma_f64 v[4:5], v[24:25], v[61:62], -v[89:90]
	v_fma_f64 v[24:25], v[26:27], v[61:62], v[63:64]
	v_fma_f64 v[8:9], v[8:9], v[69:70], -v[93:94]
	v_fma_f64 v[10:11], v[10:11], v[69:70], v[71:72]
	v_fma_f64 v[26:27], v[28:29], v[65:66], -v[91:92]
	v_fma_f64 v[0:1], v[0:1], v[73:74], -v[95:96]
	v_fma_f64 v[28:29], v[30:31], v[65:66], v[67:68]
	v_fma_f64 v[2:3], v[2:3], v[73:74], v[75:76]
	;; [unrolled: 1-line block ×3, first 2 shown]
	v_fma_f64 v[20:21], v[20:21], v[53:54], -v[55:56]
	v_add_f64 v[30:31], v[22:23], -v[34:35]
	v_add_f64 v[44:45], v[6:7], -v[38:39]
	v_add_f64 v[53:54], v[34:35], v[38:39]
	v_add_f64 v[55:56], v[4:5], -v[26:27]
	v_add_f64 v[57:58], v[8:9], -v[0:1]
	v_add_f64 v[61:62], v[24:25], -v[28:29]
	v_add_f64 v[63:64], v[10:11], -v[2:3]
	v_add_f64 v[65:66], v[28:29], v[2:3]
	v_add_f64 v[71:72], v[22:23], v[6:7]
	;; [unrolled: 1-line block ×3, first 2 shown]
	v_fma_f64 v[36:37], v[36:37], v[46:47], -v[48:49]
	v_fma_f64 v[16:17], v[16:17], v[77:78], -v[97:98]
	v_add_f64 v[48:49], v[20:21], -v[42:43]
	v_add_f64 v[59:60], v[28:29], -v[2:3]
	;; [unrolled: 1-line block ×6, first 2 shown]
	v_add_f64 v[79:80], v[24:25], v[10:11]
	v_add_f64 v[81:82], v[28:29], -v[24:25]
	v_add_f64 v[87:88], v[4:5], -v[8:9]
	v_add_f64 v[89:90], v[4:5], v[8:9]
	v_add_f64 v[91:92], v[26:27], v[0:1]
	;; [unrolled: 1-line block ×6, first 2 shown]
	v_fma_f64 v[61:62], v[71:72], -0.5, v[14:15]
	v_add_f64 v[28:29], v[75:76], v[28:29]
	v_fma_f64 v[14:15], v[53:54], -0.5, v[14:15]
	v_fma_f64 v[53:54], v[65:66], -0.5, v[18:19]
	v_add_f64 v[46:47], v[32:33], -v[36:37]
	v_add_f64 v[83:84], v[2:3], -v[10:11]
	;; [unrolled: 1-line block ×4, first 2 shown]
	v_add_f64 v[57:58], v[67:68], v[69:70]
	v_fma_f64 v[18:19], v[79:80], -0.5, v[18:19]
	v_add_f64 v[63:64], v[73:74], v[77:78]
	v_fma_f64 v[67:68], v[89:90], -0.5, v[16:17]
	v_fma_f64 v[69:70], v[91:92], -0.5, v[16:17]
	v_add_f64 v[71:72], v[93:94], v[34:35]
	v_add_f64 v[2:3], v[28:29], v[2:3]
	v_fma_f64 v[28:29], v[48:49], s[0:1], v[14:15]
	v_fma_f64 v[14:15], v[48:49], s[8:9], v[14:15]
	;; [unrolled: 1-line block ×3, first 2 shown]
	v_add_f64 v[65:66], v[81:82], v[83:84]
	v_fma_f64 v[73:74], v[46:47], s[8:9], v[61:62]
	v_fma_f64 v[61:62], v[46:47], s[0:1], v[61:62]
	;; [unrolled: 1-line block ×9, first 2 shown]
	v_add_f64 v[71:72], v[71:72], v[38:39]
	v_fma_f64 v[28:29], v[46:47], s[6:7], v[28:29]
	v_fma_f64 v[14:15], v[46:47], s[10:11], v[14:15]
	;; [unrolled: 1-line block ×12, first 2 shown]
	v_add_f64 v[22:23], v[22:23], -v[6:7]
	v_add_f64 v[69:70], v[71:72], v[6:7]
	v_fma_f64 v[6:7], v[55:56], s[14:15], v[46:47]
	v_fma_f64 v[71:72], v[57:58], s[14:15], v[73:74]
	;; [unrolled: 1-line block ×7, first 2 shown]
	v_add_f64 v[14:15], v[32:33], v[36:37]
	v_mul_f64 v[65:66], v[6:7], s[16:17]
	v_fma_f64 v[30:31], v[55:56], s[14:15], v[53:54]
	v_add_f64 v[53:54], v[20:21], v[42:43]
	v_fma_f64 v[24:25], v[63:64], s[14:15], v[24:25]
	v_fma_f64 v[46:47], v[63:64], s[14:15], v[75:76]
	v_add_f64 v[63:64], v[20:21], -v[32:33]
	v_fma_f64 v[48:49], v[57:58], s[14:15], v[48:49]
	v_add_f64 v[57:58], v[42:43], -v[36:37]
	v_fma_f64 v[44:45], v[44:45], s[14:15], v[59:60]
	v_fma_f64 v[59:60], v[67:68], s[10:11], -v[65:66]
	v_mul_f64 v[65:66], v[67:68], s[16:17]
	v_fma_f64 v[14:15], v[14:15], -0.5, v[12:13]
	v_fma_f64 v[53:54], v[53:54], -0.5, v[12:13]
	v_add_f64 v[12:13], v[12:13], v[20:21]
	v_add_f64 v[4:5], v[16:17], v[4:5]
	;; [unrolled: 1-line block ×3, first 2 shown]
	v_add_f64 v[2:3], v[32:33], -v[20:21]
	v_add_f64 v[10:11], v[36:37], -v[42:43]
	v_add_f64 v[34:35], v[34:35], -v[38:39]
	v_add_f64 v[57:58], v[63:64], v[57:58]
	v_fma_f64 v[63:64], v[6:7], s[6:7], -v[65:66]
	v_fma_f64 v[6:7], v[22:23], s[8:9], v[14:15]
	v_fma_f64 v[14:15], v[22:23], s[0:1], v[14:15]
	v_add_f64 v[12:13], v[12:13], v[32:33]
	v_add_f64 v[4:5], v[4:5], v[26:27]
	;; [unrolled: 1-line block ×3, first 2 shown]
	v_mul_f64 v[10:11], v[44:45], s[10:11]
	v_fma_f64 v[20:21], v[34:35], s[0:1], v[53:54]
	v_fma_f64 v[53:54], v[34:35], s[8:9], v[53:54]
	v_mul_f64 v[55:56], v[61:62], s[14:15]
	v_mul_f64 v[38:39], v[24:25], s[8:9]
	v_fma_f64 v[16:17], v[34:35], s[10:11], v[6:7]
	v_fma_f64 v[26:27], v[34:35], s[6:7], v[14:15]
	v_add_f64 v[12:13], v[12:13], v[36:37]
	v_add_f64 v[34:35], v[4:5], v[0:1]
	v_fma_f64 v[32:33], v[30:31], s[16:17], v[10:11]
	v_mul_f64 v[30:31], v[30:31], s[6:7]
	v_fma_f64 v[20:21], v[22:23], s[10:11], v[20:21]
	v_fma_f64 v[22:23], v[22:23], s[6:7], v[53:54]
	v_mul_f64 v[36:37], v[18:19], s[0:1]
	v_fma_f64 v[55:56], v[46:47], s[8:9], -v[55:56]
	v_mul_f64 v[46:47], v[46:47], s[14:15]
	v_fma_f64 v[38:39], v[18:19], s[14:15], v[38:39]
	v_add_f64 v[12:13], v[12:13], v[42:43]
	v_add_f64 v[8:9], v[34:35], v[8:9]
	v_fma_f64 v[16:17], v[57:58], s[14:15], v[16:17]
	v_fma_f64 v[57:58], v[57:58], s[14:15], v[26:27]
	;; [unrolled: 1-line block ×5, first 2 shown]
	v_fma_f64 v[46:47], v[61:62], s[0:1], -v[46:47]
	v_fma_f64 v[20:21], v[65:66], s[14:15], v[20:21]
	v_add_f64 v[10:11], v[48:49], -v[38:39]
	v_add_f64 v[30:31], v[48:49], v[38:39]
	v_add_f64 v[38:39], v[69:70], v[67:68]
	;; [unrolled: 1-line block ×3, first 2 shown]
	v_add_f64 v[14:15], v[73:74], -v[32:33]
	v_add_f64 v[34:35], v[73:74], v[32:33]
	v_add_f64 v[32:33], v[57:58], v[42:43]
	v_add_f64 v[2:3], v[28:29], -v[59:60]
	v_add_f64 v[22:23], v[28:29], v[59:60]
	v_add_f64 v[28:29], v[53:54], v[44:45]
	;; [unrolled: 1-line block ×4, first 2 shown]
	v_add_f64 v[4:5], v[20:21], -v[46:47]
	v_add_f64 v[20:21], v[16:17], v[63:64]
	v_add_f64 v[18:19], v[69:70], -v[67:68]
	v_add_f64 v[0:1], v[16:17], -v[63:64]
	;; [unrolled: 1-line block ×6, first 2 shown]
	ds_write_b128 v51, v[36:39]
	ds_write_b128 v51, v[32:35] offset:560
	ds_write_b128 v51, v[28:31] offset:1120
	ds_write_b128 v51, v[24:27] offset:1680
	ds_write_b128 v51, v[20:23] offset:2240
	ds_write_b128 v51, v[16:19] offset:2800
	ds_write_b128 v51, v[12:15] offset:3360
	ds_write_b128 v51, v[8:11] offset:3920
	ds_write_b128 v51, v[4:7] offset:4480
	ds_write_b128 v51, v[0:3] offset:5040
.LBB0_19:
	s_or_b64 exec, exec, s[4:5]
	s_waitcnt lgkmcnt(0)
	; wave barrier
	s_waitcnt lgkmcnt(0)
	s_and_saveexec_b64 s[0:1], vcc
	s_cbranch_execz .LBB0_21
; %bb.20:
	v_mad_u64_u32 v[0:1], s[0:1], s2, v50, 0
	v_mad_u64_u32 v[8:9], s[0:1], s2, v52, 0
	;; [unrolled: 1-line block ×3, first 2 shown]
	v_mov_b32_e32 v2, s13
	v_add_co_u32_e32 v15, vcc, s12, v40
	v_lshlrev_b64 v[0:1], 4, v[0:1]
	v_addc_co_u32_e32 v16, vcc, v2, v41, vcc
	v_add_co_u32_e32 v10, vcc, v15, v0
	v_mov_b32_e32 v0, v9
	v_mad_u64_u32 v[12:13], s[0:1], s3, v52, v[0:1]
	v_add_u32_e32 v17, 0x64, v50
	v_addc_co_u32_e32 v11, vcc, v16, v1, vcc
	ds_read_b128 v[0:3], v51
	ds_read_b128 v[4:7], v51 offset:800
	v_mad_u64_u32 v[13:14], s[0:1], s2, v17, 0
	v_mov_b32_e32 v9, v12
	s_waitcnt lgkmcnt(1)
	global_store_dwordx4 v[10:11], v[0:3], off
	s_nop 0
	v_mov_b32_e32 v2, v14
	v_mad_u64_u32 v[2:3], s[0:1], s3, v17, v[2:3]
	v_lshlrev_b64 v[0:1], 4, v[8:9]
	v_add_u32_e32 v17, 0xc8, v50
	v_mov_b32_e32 v14, v2
	v_add_u32_e32 v2, 0x96, v50
	v_add_co_u32_e32 v0, vcc, v15, v0
	v_mad_u64_u32 v[8:9], s[0:1], s2, v2, 0
	v_addc_co_u32_e32 v1, vcc, v16, v1, vcc
	s_waitcnt lgkmcnt(0)
	global_store_dwordx4 v[0:1], v[4:7], off
	v_lshlrev_b64 v[0:1], 4, v[13:14]
	v_add_co_u32_e32 v10, vcc, v15, v0
	v_mov_b32_e32 v0, v9
	v_mad_u64_u32 v[12:13], s[0:1], s3, v2, v[0:1]
	v_addc_co_u32_e32 v11, vcc, v16, v1, vcc
	ds_read_b128 v[0:3], v51 offset:1600
	ds_read_b128 v[4:7], v51 offset:2400
	v_mad_u64_u32 v[13:14], s[0:1], s2, v17, 0
	v_mov_b32_e32 v9, v12
	s_waitcnt lgkmcnt(1)
	global_store_dwordx4 v[10:11], v[0:3], off
	s_nop 0
	v_mov_b32_e32 v2, v14
	v_mad_u64_u32 v[2:3], s[0:1], s3, v17, v[2:3]
	v_lshlrev_b64 v[0:1], 4, v[8:9]
	v_add_u32_e32 v17, 0x12c, v50
	v_mov_b32_e32 v14, v2
	v_add_u32_e32 v2, 0xfa, v50
	v_add_co_u32_e32 v0, vcc, v15, v0
	v_mad_u64_u32 v[8:9], s[0:1], s2, v2, 0
	v_addc_co_u32_e32 v1, vcc, v16, v1, vcc
	s_waitcnt lgkmcnt(0)
	global_store_dwordx4 v[0:1], v[4:7], off
	v_lshlrev_b64 v[0:1], 4, v[13:14]
	v_add_co_u32_e32 v10, vcc, v15, v0
	v_mov_b32_e32 v0, v9
	v_mad_u64_u32 v[12:13], s[0:1], s3, v2, v[0:1]
	v_addc_co_u32_e32 v11, vcc, v16, v1, vcc
	ds_read_b128 v[0:3], v51 offset:3200
	ds_read_b128 v[4:7], v51 offset:4000
	v_mad_u64_u32 v[13:14], s[0:1], s2, v17, 0
	v_mov_b32_e32 v9, v12
	s_waitcnt lgkmcnt(1)
	global_store_dwordx4 v[10:11], v[0:3], off
	s_nop 0
	v_mov_b32_e32 v2, v14
	v_lshlrev_b64 v[0:1], 4, v[8:9]
	v_mad_u64_u32 v[2:3], s[0:1], s3, v17, v[2:3]
	v_add_co_u32_e32 v0, vcc, v15, v0
	v_addc_co_u32_e32 v1, vcc, v16, v1, vcc
	s_waitcnt lgkmcnt(0)
	global_store_dwordx4 v[0:1], v[4:7], off
	v_mov_b32_e32 v14, v2
	ds_read_b128 v[0:3], v51 offset:4800
	v_lshlrev_b64 v[4:5], 4, v[13:14]
	v_add_co_u32_e32 v4, vcc, v15, v4
	v_addc_co_u32_e32 v5, vcc, v16, v5, vcc
	s_waitcnt lgkmcnt(0)
	global_store_dwordx4 v[4:5], v[0:3], off
.LBB0_21:
	s_endpgm
	.section	.rodata,"a",@progbits
	.p2align	6, 0x0
	.amdhsa_kernel fft_rtc_fwd_len350_factors_5_7_10_wgs_50_tpt_50_dp_ip_CI_sbrr_dirReg
		.amdhsa_group_segment_fixed_size 0
		.amdhsa_private_segment_fixed_size 0
		.amdhsa_kernarg_size 88
		.amdhsa_user_sgpr_count 6
		.amdhsa_user_sgpr_private_segment_buffer 1
		.amdhsa_user_sgpr_dispatch_ptr 0
		.amdhsa_user_sgpr_queue_ptr 0
		.amdhsa_user_sgpr_kernarg_segment_ptr 1
		.amdhsa_user_sgpr_dispatch_id 0
		.amdhsa_user_sgpr_flat_scratch_init 0
		.amdhsa_user_sgpr_private_segment_size 0
		.amdhsa_uses_dynamic_stack 0
		.amdhsa_system_sgpr_private_segment_wavefront_offset 0
		.amdhsa_system_sgpr_workgroup_id_x 1
		.amdhsa_system_sgpr_workgroup_id_y 0
		.amdhsa_system_sgpr_workgroup_id_z 0
		.amdhsa_system_sgpr_workgroup_info 0
		.amdhsa_system_vgpr_workitem_id 0
		.amdhsa_next_free_vgpr 99
		.amdhsa_next_free_sgpr 24
		.amdhsa_reserve_vcc 1
		.amdhsa_reserve_flat_scratch 0
		.amdhsa_float_round_mode_32 0
		.amdhsa_float_round_mode_16_64 0
		.amdhsa_float_denorm_mode_32 3
		.amdhsa_float_denorm_mode_16_64 3
		.amdhsa_dx10_clamp 1
		.amdhsa_ieee_mode 1
		.amdhsa_fp16_overflow 0
		.amdhsa_exception_fp_ieee_invalid_op 0
		.amdhsa_exception_fp_denorm_src 0
		.amdhsa_exception_fp_ieee_div_zero 0
		.amdhsa_exception_fp_ieee_overflow 0
		.amdhsa_exception_fp_ieee_underflow 0
		.amdhsa_exception_fp_ieee_inexact 0
		.amdhsa_exception_int_div_zero 0
	.end_amdhsa_kernel
	.text
.Lfunc_end0:
	.size	fft_rtc_fwd_len350_factors_5_7_10_wgs_50_tpt_50_dp_ip_CI_sbrr_dirReg, .Lfunc_end0-fft_rtc_fwd_len350_factors_5_7_10_wgs_50_tpt_50_dp_ip_CI_sbrr_dirReg
                                        ; -- End function
	.section	.AMDGPU.csdata,"",@progbits
; Kernel info:
; codeLenInByte = 6600
; NumSgprs: 28
; NumVgprs: 99
; ScratchSize: 0
; MemoryBound: 0
; FloatMode: 240
; IeeeMode: 1
; LDSByteSize: 0 bytes/workgroup (compile time only)
; SGPRBlocks: 3
; VGPRBlocks: 24
; NumSGPRsForWavesPerEU: 28
; NumVGPRsForWavesPerEU: 99
; Occupancy: 2
; WaveLimiterHint : 1
; COMPUTE_PGM_RSRC2:SCRATCH_EN: 0
; COMPUTE_PGM_RSRC2:USER_SGPR: 6
; COMPUTE_PGM_RSRC2:TRAP_HANDLER: 0
; COMPUTE_PGM_RSRC2:TGID_X_EN: 1
; COMPUTE_PGM_RSRC2:TGID_Y_EN: 0
; COMPUTE_PGM_RSRC2:TGID_Z_EN: 0
; COMPUTE_PGM_RSRC2:TIDIG_COMP_CNT: 0
	.type	__hip_cuid_7543d88fa0b4e0,@object ; @__hip_cuid_7543d88fa0b4e0
	.section	.bss,"aw",@nobits
	.globl	__hip_cuid_7543d88fa0b4e0
__hip_cuid_7543d88fa0b4e0:
	.byte	0                               ; 0x0
	.size	__hip_cuid_7543d88fa0b4e0, 1

	.ident	"AMD clang version 19.0.0git (https://github.com/RadeonOpenCompute/llvm-project roc-6.4.0 25133 c7fe45cf4b819c5991fe208aaa96edf142730f1d)"
	.section	".note.GNU-stack","",@progbits
	.addrsig
	.addrsig_sym __hip_cuid_7543d88fa0b4e0
	.amdgpu_metadata
---
amdhsa.kernels:
  - .args:
      - .actual_access:  read_only
        .address_space:  global
        .offset:         0
        .size:           8
        .value_kind:     global_buffer
      - .offset:         8
        .size:           8
        .value_kind:     by_value
      - .actual_access:  read_only
        .address_space:  global
        .offset:         16
        .size:           8
        .value_kind:     global_buffer
      - .actual_access:  read_only
        .address_space:  global
        .offset:         24
        .size:           8
        .value_kind:     global_buffer
      - .offset:         32
        .size:           8
        .value_kind:     by_value
      - .actual_access:  read_only
        .address_space:  global
        .offset:         40
        .size:           8
        .value_kind:     global_buffer
      - .actual_access:  read_only
        .address_space:  global
        .offset:         48
        .size:           8
        .value_kind:     global_buffer
      - .offset:         56
        .size:           4
        .value_kind:     by_value
      - .actual_access:  read_only
        .address_space:  global
        .offset:         64
        .size:           8
        .value_kind:     global_buffer
      - .actual_access:  read_only
        .address_space:  global
        .offset:         72
        .size:           8
        .value_kind:     global_buffer
      - .address_space:  global
        .offset:         80
        .size:           8
        .value_kind:     global_buffer
    .group_segment_fixed_size: 0
    .kernarg_segment_align: 8
    .kernarg_segment_size: 88
    .language:       OpenCL C
    .language_version:
      - 2
      - 0
    .max_flat_workgroup_size: 50
    .name:           fft_rtc_fwd_len350_factors_5_7_10_wgs_50_tpt_50_dp_ip_CI_sbrr_dirReg
    .private_segment_fixed_size: 0
    .sgpr_count:     28
    .sgpr_spill_count: 0
    .symbol:         fft_rtc_fwd_len350_factors_5_7_10_wgs_50_tpt_50_dp_ip_CI_sbrr_dirReg.kd
    .uniform_work_group_size: 1
    .uses_dynamic_stack: false
    .vgpr_count:     99
    .vgpr_spill_count: 0
    .wavefront_size: 64
amdhsa.target:   amdgcn-amd-amdhsa--gfx906
amdhsa.version:
  - 1
  - 2
...

	.end_amdgpu_metadata
